;; amdgpu-corpus repo=ROCm/rocFFT kind=compiled arch=gfx1201 opt=O3
	.text
	.amdgcn_target "amdgcn-amd-amdhsa--gfx1201"
	.amdhsa_code_object_version 6
	.protected	fft_rtc_fwd_len390_factors_13_3_10_wgs_117_tpt_39_half_op_CI_CI_unitstride_sbrr_C2R_dirReg ; -- Begin function fft_rtc_fwd_len390_factors_13_3_10_wgs_117_tpt_39_half_op_CI_CI_unitstride_sbrr_C2R_dirReg
	.globl	fft_rtc_fwd_len390_factors_13_3_10_wgs_117_tpt_39_half_op_CI_CI_unitstride_sbrr_C2R_dirReg
	.p2align	8
	.type	fft_rtc_fwd_len390_factors_13_3_10_wgs_117_tpt_39_half_op_CI_CI_unitstride_sbrr_C2R_dirReg,@function
fft_rtc_fwd_len390_factors_13_3_10_wgs_117_tpt_39_half_op_CI_CI_unitstride_sbrr_C2R_dirReg: ; @fft_rtc_fwd_len390_factors_13_3_10_wgs_117_tpt_39_half_op_CI_CI_unitstride_sbrr_C2R_dirReg
; %bb.0:
	s_load_b128 s[8:11], s[0:1], 0x0
	v_mul_u32_u24_e32 v1, 0x691, v0
	s_clause 0x1
	s_load_b128 s[4:7], s[0:1], 0x58
	s_load_b128 s[12:15], s[0:1], 0x18
	v_mov_b32_e32 v9, 0
	v_mov_b32_e32 v7, 0
	;; [unrolled: 1-line block ×3, first 2 shown]
	v_lshrrev_b32_e32 v1, 16, v1
	s_delay_alu instid0(VALU_DEP_1) | instskip(NEXT) | instid1(VALU_DEP_4)
	v_mad_co_u64_u32 v[3:4], null, ttmp9, 3, v[1:2]
	v_dual_mov_b32 v4, v9 :: v_dual_mov_b32 v1, v7
	s_delay_alu instid0(VALU_DEP_4) | instskip(NEXT) | instid1(VALU_DEP_2)
	v_mov_b32_e32 v2, v8
	v_dual_mov_b32 v6, v4 :: v_dual_mov_b32 v5, v3
	s_wait_kmcnt 0x0
	v_cmp_lt_u64_e64 s2, s[10:11], 2
	s_delay_alu instid0(VALU_DEP_1)
	s_and_b32 vcc_lo, exec_lo, s2
	s_cbranch_vccnz .LBB0_8
; %bb.1:
	s_load_b64 s[2:3], s[0:1], 0x10
	v_dual_mov_b32 v7, 0 :: v_dual_mov_b32 v12, v4
	v_dual_mov_b32 v8, 0 :: v_dual_mov_b32 v11, v3
	s_delay_alu instid0(VALU_DEP_2) | instskip(SKIP_2) | instid1(VALU_DEP_2)
	v_mov_b32_e32 v1, v7
	s_add_nc_u64 s[16:17], s[14:15], 8
	s_add_nc_u64 s[18:19], s[12:13], 8
	v_mov_b32_e32 v2, v8
	s_mov_b64 s[20:21], 1
	s_wait_kmcnt 0x0
	s_add_nc_u64 s[22:23], s[2:3], 8
	s_mov_b32 s3, 0
.LBB0_2:                                ; =>This Inner Loop Header: Depth=1
	s_load_b64 s[24:25], s[22:23], 0x0
                                        ; implicit-def: $vgpr5_vgpr6
	s_mov_b32 s2, exec_lo
	s_wait_kmcnt 0x0
	v_or_b32_e32 v10, s25, v12
	s_delay_alu instid0(VALU_DEP_1)
	v_cmpx_ne_u64_e32 0, v[9:10]
	s_wait_alu 0xfffe
	s_xor_b32 s26, exec_lo, s2
	s_cbranch_execz .LBB0_4
; %bb.3:                                ;   in Loop: Header=BB0_2 Depth=1
	s_cvt_f32_u32 s2, s24
	s_cvt_f32_u32 s27, s25
	s_sub_nc_u64 s[30:31], 0, s[24:25]
	s_wait_alu 0xfffe
	s_delay_alu instid0(SALU_CYCLE_1) | instskip(SKIP_1) | instid1(SALU_CYCLE_2)
	s_fmamk_f32 s2, s27, 0x4f800000, s2
	s_wait_alu 0xfffe
	v_s_rcp_f32 s2, s2
	s_delay_alu instid0(TRANS32_DEP_1) | instskip(SKIP_1) | instid1(SALU_CYCLE_2)
	s_mul_f32 s2, s2, 0x5f7ffffc
	s_wait_alu 0xfffe
	s_mul_f32 s27, s2, 0x2f800000
	s_wait_alu 0xfffe
	s_delay_alu instid0(SALU_CYCLE_2) | instskip(SKIP_1) | instid1(SALU_CYCLE_2)
	s_trunc_f32 s27, s27
	s_wait_alu 0xfffe
	s_fmamk_f32 s2, s27, 0xcf800000, s2
	s_cvt_u32_f32 s29, s27
	s_wait_alu 0xfffe
	s_delay_alu instid0(SALU_CYCLE_1) | instskip(SKIP_1) | instid1(SALU_CYCLE_2)
	s_cvt_u32_f32 s28, s2
	s_wait_alu 0xfffe
	s_mul_u64 s[34:35], s[30:31], s[28:29]
	s_wait_alu 0xfffe
	s_mul_hi_u32 s37, s28, s35
	s_mul_i32 s36, s28, s35
	s_mul_hi_u32 s2, s28, s34
	s_mul_i32 s33, s29, s34
	s_wait_alu 0xfffe
	s_add_nc_u64 s[36:37], s[2:3], s[36:37]
	s_mul_hi_u32 s27, s29, s34
	s_mul_hi_u32 s38, s29, s35
	s_add_co_u32 s2, s36, s33
	s_wait_alu 0xfffe
	s_add_co_ci_u32 s2, s37, s27
	s_mul_i32 s34, s29, s35
	s_add_co_ci_u32 s35, s38, 0
	s_wait_alu 0xfffe
	s_add_nc_u64 s[34:35], s[2:3], s[34:35]
	s_wait_alu 0xfffe
	v_add_co_u32 v4, s2, s28, s34
	s_delay_alu instid0(VALU_DEP_1) | instskip(SKIP_1) | instid1(VALU_DEP_1)
	s_cmp_lg_u32 s2, 0
	s_add_co_ci_u32 s29, s29, s35
	v_readfirstlane_b32 s28, v4
	s_wait_alu 0xfffe
	s_delay_alu instid0(VALU_DEP_1)
	s_mul_u64 s[30:31], s[30:31], s[28:29]
	s_wait_alu 0xfffe
	s_mul_hi_u32 s35, s28, s31
	s_mul_i32 s34, s28, s31
	s_mul_hi_u32 s2, s28, s30
	s_mul_i32 s33, s29, s30
	s_wait_alu 0xfffe
	s_add_nc_u64 s[34:35], s[2:3], s[34:35]
	s_mul_hi_u32 s27, s29, s30
	s_mul_hi_u32 s28, s29, s31
	s_wait_alu 0xfffe
	s_add_co_u32 s2, s34, s33
	s_add_co_ci_u32 s2, s35, s27
	s_mul_i32 s30, s29, s31
	s_add_co_ci_u32 s31, s28, 0
	s_wait_alu 0xfffe
	s_add_nc_u64 s[30:31], s[2:3], s[30:31]
	s_wait_alu 0xfffe
	v_add_co_u32 v6, s2, v4, s30
	s_delay_alu instid0(VALU_DEP_1) | instskip(SKIP_1) | instid1(VALU_DEP_1)
	s_cmp_lg_u32 s2, 0
	s_add_co_ci_u32 s2, s29, s31
	v_mul_hi_u32 v10, v11, v6
	s_wait_alu 0xfffe
	v_mad_co_u64_u32 v[4:5], null, v11, s2, 0
	v_mad_co_u64_u32 v[13:14], null, v12, v6, 0
	;; [unrolled: 1-line block ×3, first 2 shown]
	s_delay_alu instid0(VALU_DEP_3) | instskip(SKIP_1) | instid1(VALU_DEP_4)
	v_add_co_u32 v4, vcc_lo, v10, v4
	s_wait_alu 0xfffd
	v_add_co_ci_u32_e32 v5, vcc_lo, 0, v5, vcc_lo
	s_delay_alu instid0(VALU_DEP_2) | instskip(SKIP_1) | instid1(VALU_DEP_2)
	v_add_co_u32 v4, vcc_lo, v4, v13
	s_wait_alu 0xfffd
	v_add_co_ci_u32_e32 v4, vcc_lo, v5, v14, vcc_lo
	s_wait_alu 0xfffd
	v_add_co_ci_u32_e32 v5, vcc_lo, 0, v16, vcc_lo
	s_delay_alu instid0(VALU_DEP_2) | instskip(SKIP_1) | instid1(VALU_DEP_2)
	v_add_co_u32 v10, vcc_lo, v4, v15
	s_wait_alu 0xfffd
	v_add_co_ci_u32_e32 v6, vcc_lo, 0, v5, vcc_lo
	s_delay_alu instid0(VALU_DEP_2) | instskip(SKIP_1) | instid1(VALU_DEP_3)
	v_mul_lo_u32 v13, s25, v10
	v_mad_co_u64_u32 v[4:5], null, s24, v10, 0
	v_mul_lo_u32 v14, s24, v6
	s_delay_alu instid0(VALU_DEP_2) | instskip(NEXT) | instid1(VALU_DEP_2)
	v_sub_co_u32 v4, vcc_lo, v11, v4
	v_add3_u32 v5, v5, v14, v13
	s_delay_alu instid0(VALU_DEP_1) | instskip(SKIP_1) | instid1(VALU_DEP_1)
	v_sub_nc_u32_e32 v13, v12, v5
	s_wait_alu 0xfffd
	v_subrev_co_ci_u32_e64 v13, s2, s25, v13, vcc_lo
	v_add_co_u32 v14, s2, v10, 2
	s_wait_alu 0xf1ff
	v_add_co_ci_u32_e64 v15, s2, 0, v6, s2
	v_sub_co_u32 v16, s2, v4, s24
	v_sub_co_ci_u32_e32 v5, vcc_lo, v12, v5, vcc_lo
	s_wait_alu 0xf1ff
	v_subrev_co_ci_u32_e64 v13, s2, 0, v13, s2
	s_delay_alu instid0(VALU_DEP_3) | instskip(NEXT) | instid1(VALU_DEP_3)
	v_cmp_le_u32_e32 vcc_lo, s24, v16
	v_cmp_eq_u32_e64 s2, s25, v5
	s_wait_alu 0xfffd
	v_cndmask_b32_e64 v16, 0, -1, vcc_lo
	v_cmp_le_u32_e32 vcc_lo, s25, v13
	s_wait_alu 0xfffd
	v_cndmask_b32_e64 v17, 0, -1, vcc_lo
	v_cmp_le_u32_e32 vcc_lo, s24, v4
	;; [unrolled: 3-line block ×3, first 2 shown]
	s_wait_alu 0xfffd
	v_cndmask_b32_e64 v18, 0, -1, vcc_lo
	v_cmp_eq_u32_e32 vcc_lo, s25, v13
	s_wait_alu 0xf1ff
	s_delay_alu instid0(VALU_DEP_2)
	v_cndmask_b32_e64 v4, v18, v4, s2
	s_wait_alu 0xfffd
	v_cndmask_b32_e32 v13, v17, v16, vcc_lo
	v_add_co_u32 v16, vcc_lo, v10, 1
	s_wait_alu 0xfffd
	v_add_co_ci_u32_e32 v17, vcc_lo, 0, v6, vcc_lo
	s_delay_alu instid0(VALU_DEP_3) | instskip(SKIP_1) | instid1(VALU_DEP_2)
	v_cmp_ne_u32_e32 vcc_lo, 0, v13
	s_wait_alu 0xfffd
	v_cndmask_b32_e32 v5, v17, v15, vcc_lo
	v_cndmask_b32_e32 v13, v16, v14, vcc_lo
	v_cmp_ne_u32_e32 vcc_lo, 0, v4
	s_wait_alu 0xfffd
	s_delay_alu instid0(VALU_DEP_3) | instskip(NEXT) | instid1(VALU_DEP_3)
	v_cndmask_b32_e32 v6, v6, v5, vcc_lo
	v_cndmask_b32_e32 v5, v10, v13, vcc_lo
.LBB0_4:                                ;   in Loop: Header=BB0_2 Depth=1
	s_wait_alu 0xfffe
	s_and_not1_saveexec_b32 s2, s26
	s_cbranch_execz .LBB0_6
; %bb.5:                                ;   in Loop: Header=BB0_2 Depth=1
	v_cvt_f32_u32_e32 v4, s24
	s_sub_co_i32 s26, 0, s24
	s_delay_alu instid0(VALU_DEP_1) | instskip(NEXT) | instid1(TRANS32_DEP_1)
	v_rcp_iflag_f32_e32 v4, v4
	v_mul_f32_e32 v4, 0x4f7ffffe, v4
	s_delay_alu instid0(VALU_DEP_1) | instskip(SKIP_1) | instid1(VALU_DEP_1)
	v_cvt_u32_f32_e32 v4, v4
	s_wait_alu 0xfffe
	v_mul_lo_u32 v5, s26, v4
	s_delay_alu instid0(VALU_DEP_1) | instskip(NEXT) | instid1(VALU_DEP_1)
	v_mul_hi_u32 v5, v4, v5
	v_add_nc_u32_e32 v4, v4, v5
	s_delay_alu instid0(VALU_DEP_1) | instskip(NEXT) | instid1(VALU_DEP_1)
	v_mul_hi_u32 v4, v11, v4
	v_mul_lo_u32 v5, v4, s24
	v_add_nc_u32_e32 v6, 1, v4
	s_delay_alu instid0(VALU_DEP_2) | instskip(NEXT) | instid1(VALU_DEP_1)
	v_sub_nc_u32_e32 v5, v11, v5
	v_subrev_nc_u32_e32 v10, s24, v5
	v_cmp_le_u32_e32 vcc_lo, s24, v5
	s_wait_alu 0xfffd
	s_delay_alu instid0(VALU_DEP_2) | instskip(SKIP_1) | instid1(VALU_DEP_2)
	v_cndmask_b32_e32 v5, v5, v10, vcc_lo
	v_cndmask_b32_e32 v4, v4, v6, vcc_lo
	v_cmp_le_u32_e32 vcc_lo, s24, v5
	s_delay_alu instid0(VALU_DEP_2) | instskip(SKIP_1) | instid1(VALU_DEP_1)
	v_add_nc_u32_e32 v6, 1, v4
	s_wait_alu 0xfffd
	v_dual_cndmask_b32 v5, v4, v6 :: v_dual_mov_b32 v6, v9
.LBB0_6:                                ;   in Loop: Header=BB0_2 Depth=1
	s_wait_alu 0xfffe
	s_or_b32 exec_lo, exec_lo, s2
	s_delay_alu instid0(VALU_DEP_1) | instskip(NEXT) | instid1(VALU_DEP_2)
	v_mul_lo_u32 v4, v6, s24
	v_mul_lo_u32 v10, v5, s25
	s_load_b64 s[26:27], s[18:19], 0x0
	v_mad_co_u64_u32 v[13:14], null, v5, s24, 0
	s_load_b64 s[24:25], s[16:17], 0x0
	s_add_nc_u64 s[20:21], s[20:21], 1
	s_add_nc_u64 s[16:17], s[16:17], 8
	s_wait_alu 0xfffe
	v_cmp_ge_u64_e64 s2, s[20:21], s[10:11]
	s_add_nc_u64 s[18:19], s[18:19], 8
	s_add_nc_u64 s[22:23], s[22:23], 8
	v_add3_u32 v4, v14, v10, v4
	v_sub_co_u32 v10, vcc_lo, v11, v13
	s_wait_alu 0xfffd
	s_delay_alu instid0(VALU_DEP_2) | instskip(SKIP_2) | instid1(VALU_DEP_1)
	v_sub_co_ci_u32_e32 v4, vcc_lo, v12, v4, vcc_lo
	s_and_b32 vcc_lo, exec_lo, s2
	s_wait_kmcnt 0x0
	v_mul_lo_u32 v11, s26, v4
	v_mul_lo_u32 v12, s27, v10
	v_mad_co_u64_u32 v[7:8], null, s26, v10, v[7:8]
	v_mul_lo_u32 v4, s24, v4
	v_mul_lo_u32 v13, s25, v10
	v_mad_co_u64_u32 v[1:2], null, s24, v10, v[1:2]
	s_delay_alu instid0(VALU_DEP_4) | instskip(NEXT) | instid1(VALU_DEP_2)
	v_add3_u32 v8, v12, v8, v11
	v_add3_u32 v2, v13, v2, v4
	s_wait_alu 0xfffe
	s_cbranch_vccnz .LBB0_8
; %bb.7:                                ;   in Loop: Header=BB0_2 Depth=1
	v_dual_mov_b32 v12, v6 :: v_dual_mov_b32 v11, v5
	s_branch .LBB0_2
.LBB0_8:
	s_load_b64 s[0:1], s[0:1], 0x28
	v_mul_hi_u32 v4, 0xaaaaaaab, v3
	s_lshl_b64 s[10:11], s[10:11], 3
	s_wait_alu 0xfffe
	s_add_nc_u64 s[2:3], s[14:15], s[10:11]
	s_delay_alu instid0(VALU_DEP_1) | instskip(NEXT) | instid1(VALU_DEP_1)
	v_lshrrev_b32_e32 v4, 1, v4
	v_lshl_add_u32 v9, v4, 1, v4
	v_mul_hi_u32 v4, 0x6906907, v0
	s_delay_alu instid0(VALU_DEP_2) | instskip(SKIP_3) | instid1(VALU_DEP_1)
	v_sub_nc_u32_e32 v9, v3, v9
	s_wait_kmcnt 0x0
	v_cmp_gt_u64_e32 vcc_lo, s[0:1], v[5:6]
	v_cmp_le_u64_e64 s0, s[0:1], v[5:6]
                                        ; implicit-def: $vgpr3
	s_and_saveexec_b32 s1, s0
	s_wait_alu 0xfffe
	s_xor_b32 s0, exec_lo, s1
; %bb.9:
	v_mul_u32_u24_e32 v3, 39, v4
                                        ; implicit-def: $vgpr4
                                        ; implicit-def: $vgpr7_vgpr8
	s_delay_alu instid0(VALU_DEP_1)
	v_sub_nc_u32_e32 v3, v0, v3
                                        ; implicit-def: $vgpr0
; %bb.10:
	s_wait_alu 0xfffe
	s_or_saveexec_b32 s1, s0
	s_load_b64 s[2:3], s[2:3], 0x0
	v_mul_u32_u24_e32 v9, 0x187, v9
	s_delay_alu instid0(VALU_DEP_1)
	v_lshlrev_b32_e32 v22, 2, v9
	s_xor_b32 exec_lo, exec_lo, s1
	s_cbranch_execz .LBB0_14
; %bb.11:
	s_add_nc_u64 s[10:11], s[12:13], s[10:11]
	v_lshlrev_b64_e32 v[7:8], 2, v[7:8]
	s_load_b64 s[10:11], s[10:11], 0x0
	s_wait_kmcnt 0x0
	v_mul_lo_u32 v3, s11, v5
	v_mul_lo_u32 v12, s10, v6
	v_mad_co_u64_u32 v[10:11], null, s10, v5, 0
	s_delay_alu instid0(VALU_DEP_1) | instskip(SKIP_1) | instid1(VALU_DEP_2)
	v_add3_u32 v11, v11, v12, v3
	v_mul_u32_u24_e32 v3, 39, v4
	v_lshlrev_b64_e32 v[10:11], 2, v[10:11]
	s_delay_alu instid0(VALU_DEP_2) | instskip(NEXT) | instid1(VALU_DEP_1)
	v_sub_nc_u32_e32 v3, v0, v3
	v_lshlrev_b32_e32 v12, 2, v3
	s_delay_alu instid0(VALU_DEP_3) | instskip(SKIP_1) | instid1(VALU_DEP_4)
	v_add_co_u32 v0, s0, s4, v10
	s_wait_alu 0xf1ff
	v_add_co_ci_u32_e64 v4, s0, s5, v11, s0
	s_mov_b32 s4, exec_lo
	s_delay_alu instid0(VALU_DEP_2) | instskip(SKIP_1) | instid1(VALU_DEP_2)
	v_add_co_u32 v7, s0, v0, v7
	s_wait_alu 0xf1ff
	v_add_co_ci_u32_e64 v8, s0, v4, v8, s0
	v_add3_u32 v0, 0, v22, v12
	s_delay_alu instid0(VALU_DEP_3) | instskip(SKIP_1) | instid1(VALU_DEP_3)
	v_add_co_u32 v10, s0, v7, v12
	s_wait_alu 0xf1ff
	v_add_co_ci_u32_e64 v11, s0, 0, v8, s0
	s_clause 0x9
	global_load_b32 v4, v[10:11], off
	global_load_b32 v13, v[10:11], off offset:156
	global_load_b32 v14, v[10:11], off offset:312
	;; [unrolled: 1-line block ×9, first 2 shown]
	v_add_nc_u32_e32 v11, 0x200, v0
	v_add_nc_u32_e32 v12, 0x400, v0
	s_wait_loadcnt 0x8
	ds_store_2addr_b32 v0, v4, v13 offset1:39
	s_wait_loadcnt 0x6
	ds_store_2addr_b32 v0, v14, v15 offset0:78 offset1:117
	s_wait_loadcnt 0x4
	ds_store_2addr_b32 v0, v16, v17 offset0:156 offset1:195
	;; [unrolled: 2-line block ×4, first 2 shown]
	v_cmpx_eq_u32_e32 38, v3
	s_cbranch_execz .LBB0_13
; %bb.12:
	global_load_b32 v4, v[7:8], off offset:1560
	v_mov_b32_e32 v3, 38
	s_wait_loadcnt 0x0
	ds_store_b32 v0, v4 offset:1408
.LBB0_13:
	s_wait_alu 0xfffe
	s_or_b32 exec_lo, exec_lo, s4
.LBB0_14:
	s_delay_alu instid0(SALU_CYCLE_1)
	s_or_b32 exec_lo, exec_lo, s1
	v_lshl_add_u32 v0, v9, 2, 0
	v_lshlrev_b32_e32 v4, 2, v3
	global_wb scope:SCOPE_SE
	s_wait_dscnt 0x0
	s_wait_kmcnt 0x0
	s_barrier_signal -1
	s_barrier_wait -1
	global_inv scope:SCOPE_SE
	v_add_nc_u32_e32 v21, v0, v4
	v_sub_nc_u32_e32 v10, v0, v4
	s_mov_b32 s1, exec_lo
                                        ; implicit-def: $vgpr7_vgpr8
	ds_load_u16 v13, v21
	ds_load_u16 v14, v10 offset:1560
	s_wait_dscnt 0x0
	v_add_f16_e32 v12, v14, v13
	v_sub_f16_e32 v11, v13, v14
	v_cmpx_ne_u32_e32 0, v3
	s_wait_alu 0xfffe
	s_xor_b32 s1, exec_lo, s1
	s_cbranch_execz .LBB0_16
; %bb.15:
	v_mov_b32_e32 v4, 0
	v_add_f16_e32 v12, v14, v13
	v_sub_f16_e32 v13, v13, v14
	s_delay_alu instid0(VALU_DEP_3) | instskip(NEXT) | instid1(VALU_DEP_1)
	v_lshlrev_b64_e32 v[7:8], 2, v[3:4]
	v_add_co_u32 v7, s0, s8, v7
	s_wait_alu 0xf1ff
	s_delay_alu instid0(VALU_DEP_2)
	v_add_co_ci_u32_e64 v8, s0, s9, v8, s0
	global_load_b32 v7, v[7:8], off offset:1508
	ds_load_u16 v8, v10 offset:1562
	ds_load_u16 v11, v21 offset:2
	s_wait_dscnt 0x0
	v_add_f16_e32 v14, v8, v11
	v_sub_f16_e32 v8, v11, v8
	s_wait_loadcnt 0x0
	v_lshrrev_b32_e32 v15, 16, v7
	s_delay_alu instid0(VALU_DEP_1) | instskip(NEXT) | instid1(VALU_DEP_3)
	v_fma_f16 v16, -v13, v15, v12
	v_fma_f16 v17, v14, v15, -v8
	v_fma_f16 v11, v14, v15, v8
	v_fma_f16 v12, v13, v15, v12
	s_delay_alu instid0(VALU_DEP_4) | instskip(NEXT) | instid1(VALU_DEP_4)
	v_fmac_f16_e32 v16, v7, v14
	v_fmac_f16_e32 v17, v13, v7
	s_delay_alu instid0(VALU_DEP_4) | instskip(NEXT) | instid1(VALU_DEP_4)
	v_fmac_f16_e32 v11, v13, v7
	v_fma_f16 v12, -v7, v14, v12
	v_dual_mov_b32 v8, v4 :: v_dual_mov_b32 v7, v3
	s_delay_alu instid0(VALU_DEP_4)
	v_pack_b32_f16 v13, v16, v17
	ds_store_b32 v10, v13 offset:1560
.LBB0_16:
	s_wait_alu 0xfffe
	s_and_not1_saveexec_b32 s0, s1
	s_cbranch_execz .LBB0_18
; %bb.17:
	ds_load_b32 v4, v0 offset:780
	v_mov_b32_e32 v7, 0
	v_mov_b32_e32 v8, 0
	s_wait_dscnt 0x0
	v_pk_mul_f16 v4, 0xc0004000, v4
	ds_store_b32 v0, v4 offset:780
.LBB0_18:
	s_wait_alu 0xfffe
	s_or_b32 exec_lo, exec_lo, s0
	v_lshlrev_b64_e32 v[7:8], 2, v[7:8]
	s_add_nc_u64 s[0:1], s[8:9], 0x5e4
	v_lshl_add_u32 v28, v3, 2, 0
	s_wait_alu 0xfffe
	s_delay_alu instid0(VALU_DEP_2)
	v_add_co_u32 v7, s0, s0, v7
	s_wait_alu 0xf1ff
	v_add_co_ci_u32_e64 v8, s0, s1, v8, s0
	s_mov_b32 s1, exec_lo
	s_clause 0x3
	global_load_b32 v4, v[7:8], off offset:156
	global_load_b32 v13, v[7:8], off offset:312
	;; [unrolled: 1-line block ×4, first 2 shown]
	v_perm_b32 v8, v11, v12, 0x5040100
	ds_store_b32 v21, v8
	ds_load_b32 v8, v21 offset:156
	ds_load_b32 v11, v10 offset:1404
	s_wait_dscnt 0x1
	v_lshrrev_b32_e32 v12, 16, v8
	s_wait_dscnt 0x0
	v_lshrrev_b32_e32 v15, 16, v11
	v_add_f16_e32 v16, v8, v11
	v_sub_f16_e32 v8, v8, v11
	s_delay_alu instid0(VALU_DEP_3) | instskip(SKIP_3) | instid1(VALU_DEP_1)
	v_add_f16_e32 v11, v15, v12
	v_sub_f16_e32 v12, v12, v15
	s_wait_loadcnt 0x3
	v_lshrrev_b32_e32 v17, 16, v4
	v_fma_f16 v15, v8, v17, v16
	s_delay_alu instid0(VALU_DEP_3) | instskip(SKIP_2) | instid1(VALU_DEP_4)
	v_fma_f16 v18, v11, v17, v12
	v_fma_f16 v16, -v8, v17, v16
	v_fma_f16 v12, v11, v17, -v12
	v_fma_f16 v15, -v4, v11, v15
	s_delay_alu instid0(VALU_DEP_4) | instskip(NEXT) | instid1(VALU_DEP_4)
	v_fmac_f16_e32 v18, v8, v4
	v_fmac_f16_e32 v16, v4, v11
	s_delay_alu instid0(VALU_DEP_4) | instskip(NEXT) | instid1(VALU_DEP_3)
	v_fmac_f16_e32 v12, v8, v4
	v_pack_b32_f16 v4, v15, v18
	s_wait_loadcnt 0x2
	v_lshrrev_b32_e32 v15, 16, v13
	s_delay_alu instid0(VALU_DEP_3)
	v_pack_b32_f16 v8, v16, v12
	ds_store_b32 v21, v4 offset:156
	ds_store_b32 v10, v8 offset:1404
	ds_load_b32 v4, v21 offset:312
	ds_load_b32 v8, v10 offset:1248
	s_wait_dscnt 0x1
	v_lshrrev_b32_e32 v11, 16, v4
	s_wait_dscnt 0x0
	v_lshrrev_b32_e32 v12, 16, v8
	v_add_f16_e32 v16, v4, v8
	v_sub_f16_e32 v4, v4, v8
	s_delay_alu instid0(VALU_DEP_3) | instskip(SKIP_1) | instid1(VALU_DEP_3)
	v_add_f16_e32 v8, v12, v11
	v_sub_f16_e32 v11, v11, v12
	v_fma_f16 v12, v4, v15, v16
	v_fma_f16 v16, -v4, v15, v16
	s_delay_alu instid0(VALU_DEP_3) | instskip(SKIP_1) | instid1(VALU_DEP_4)
	v_fma_f16 v17, v8, v15, v11
	v_fma_f16 v11, v8, v15, -v11
	v_fma_f16 v12, -v13, v8, v12
	s_delay_alu instid0(VALU_DEP_4) | instskip(NEXT) | instid1(VALU_DEP_4)
	v_fmac_f16_e32 v16, v13, v8
	v_fmac_f16_e32 v17, v4, v13
	s_delay_alu instid0(VALU_DEP_4) | instskip(SKIP_2) | instid1(VALU_DEP_3)
	v_fmac_f16_e32 v11, v4, v13
	s_wait_loadcnt 0x1
	v_lshrrev_b32_e32 v13, 16, v14
	v_pack_b32_f16 v4, v12, v17
	s_delay_alu instid0(VALU_DEP_3)
	v_pack_b32_f16 v8, v16, v11
	ds_store_b32 v21, v4 offset:312
	ds_store_b32 v10, v8 offset:1248
	ds_load_b32 v4, v21 offset:468
	ds_load_b32 v8, v10 offset:1092
	s_wait_dscnt 0x1
	v_lshrrev_b32_e32 v11, 16, v4
	s_wait_dscnt 0x0
	v_lshrrev_b32_e32 v12, 16, v8
	v_add_f16_e32 v15, v4, v8
	v_sub_f16_e32 v4, v4, v8
	s_delay_alu instid0(VALU_DEP_3) | instskip(SKIP_1) | instid1(VALU_DEP_3)
	v_add_f16_e32 v8, v12, v11
	v_sub_f16_e32 v11, v11, v12
	v_fma_f16 v12, v4, v13, v15
	v_fma_f16 v15, -v4, v13, v15
	s_delay_alu instid0(VALU_DEP_3) | instskip(SKIP_1) | instid1(VALU_DEP_4)
	v_fma_f16 v16, v8, v13, v11
	v_fma_f16 v11, v8, v13, -v11
	v_fma_f16 v12, -v14, v8, v12
	s_delay_alu instid0(VALU_DEP_4) | instskip(SKIP_4) | instid1(VALU_DEP_2)
	v_fmac_f16_e32 v15, v14, v8
	s_wait_loadcnt 0x0
	v_lshrrev_b32_e32 v13, 16, v7
	v_fmac_f16_e32 v16, v4, v14
	v_fmac_f16_e32 v11, v4, v14
	v_pack_b32_f16 v4, v12, v16
	s_delay_alu instid0(VALU_DEP_2)
	v_pack_b32_f16 v8, v15, v11
	ds_store_b32 v21, v4 offset:468
	ds_store_b32 v10, v8 offset:1092
	ds_load_b32 v4, v21 offset:624
	ds_load_b32 v8, v10 offset:936
	s_wait_dscnt 0x1
	v_lshrrev_b32_e32 v11, 16, v4
	s_wait_dscnt 0x0
	v_lshrrev_b32_e32 v12, 16, v8
	v_add_f16_e32 v14, v4, v8
	v_sub_f16_e32 v4, v4, v8
	s_delay_alu instid0(VALU_DEP_3) | instskip(SKIP_1) | instid1(VALU_DEP_3)
	v_add_f16_e32 v8, v12, v11
	v_sub_f16_e32 v11, v11, v12
	v_fma_f16 v12, v4, v13, v14
	v_fma_f16 v14, -v4, v13, v14
	s_delay_alu instid0(VALU_DEP_3) | instskip(SKIP_1) | instid1(VALU_DEP_4)
	v_fma_f16 v15, v8, v13, v11
	v_fma_f16 v11, v8, v13, -v11
	v_fma_f16 v12, -v7, v8, v12
	s_delay_alu instid0(VALU_DEP_4) | instskip(NEXT) | instid1(VALU_DEP_4)
	v_fmac_f16_e32 v14, v7, v8
	v_fmac_f16_e32 v15, v4, v7
	s_delay_alu instid0(VALU_DEP_4) | instskip(SKIP_1) | instid1(VALU_DEP_3)
	v_fmac_f16_e32 v11, v4, v7
	v_lshl_add_u32 v4, v9, 2, v28
	v_pack_b32_f16 v7, v12, v15
	s_delay_alu instid0(VALU_DEP_3) | instskip(NEXT) | instid1(VALU_DEP_3)
	v_pack_b32_f16 v8, v14, v11
	v_add_nc_u32_e32 v27, 0x400, v4
	ds_store_b32 v21, v7 offset:624
	ds_store_b32 v10, v8 offset:936
	global_wb scope:SCOPE_SE
	s_wait_dscnt 0x0
	s_barrier_signal -1
	s_barrier_wait -1
	global_inv scope:SCOPE_SE
	global_wb scope:SCOPE_SE
	s_barrier_signal -1
	s_barrier_wait -1
	global_inv scope:SCOPE_SE
	ds_load_2addr_b32 v[9:10], v27 offset0:74 offset1:104
	ds_load_2addr_b32 v[19:20], v4 offset0:30 offset1:60
	ds_load_b32 v39, v21
	ds_load_2addr_b32 v[17:18], v4 offset0:90 offset1:120
	ds_load_2addr_b32 v[11:12], v27 offset0:14 offset1:44
	;; [unrolled: 1-line block ×4, first 2 shown]
	global_wb scope:SCOPE_SE
	s_wait_dscnt 0x0
	s_barrier_signal -1
	s_barrier_wait -1
	global_inv scope:SCOPE_SE
	v_pk_add_f16 v31, v10, v19
	v_pk_add_f16 v29, v19, v10 neg_lo:[0,1] neg_hi:[0,1]
	v_pk_add_f16 v34, v9, v20
	v_pk_add_f16 v30, v20, v9 neg_lo:[0,1] neg_hi:[0,1]
	v_lshrrev_b32_e32 v42, 16, v39
	v_pk_mul_f16 v7, 0x388b2fb7, v31
	v_lshrrev_b32_e32 v54, 16, v29
	v_lshrrev_b32_e32 v48, 16, v31
	v_mul_f16_e32 v77, 0xbbf1, v29
	v_mul_f16_e32 v83, 0xbb7b, v29
	v_pk_add_f16 v33, v12, v17
	v_pk_add_f16 v32, v17, v12 neg_lo:[0,1] neg_hi:[0,1]
	v_lshrrev_b32_e32 v53, 16, v30
	v_pk_mul_f16 v8, 0xb5acbbc4, v34
	v_lshrrev_b32_e32 v46, 16, v34
	v_mul_f16_e32 v65, 0xb3a8, v30
	v_mul_f16_e32 v84, 0x394e, v30
	;; [unrolled: 1-line block ×3, first 2 shown]
	v_pk_fma_f16 v72, 0xbbf1ba95, v29, v7 op_sel:[0,0,1] op_sel_hi:[1,1,0] neg_lo:[0,1,0] neg_hi:[0,1,0]
	v_pk_fma_f16 v75, 0xbbf1ba95, v29, v7 op_sel:[0,0,1] op_sel_hi:[1,1,0]
	v_fma_f16 v7, v48, 0x2fb7, -v77
	v_mul_f16_e32 v90, 0xbb7b, v54
	v_fma_f16 v91, v48, 0xb5ac, -v83
	v_pk_add_f16 v36, v11, v18
	v_pk_add_f16 v35, v18, v11 neg_lo:[0,1] neg_hi:[0,1]
	v_lshrrev_b32_e32 v52, 16, v32
	v_pk_mul_f16 v23, 0xbbc4b5ac, v33
	v_lshrrev_b32_e32 v45, 16, v33
	v_mul_f16_e32 v59, 0x3b7b, v32
	v_mul_f16_e32 v82, 0x3770, v32
	;; [unrolled: 1-line block ×3, first 2 shown]
	v_pk_fma_f16 v60, 0xb3a8bb7b, v30, v8 op_sel:[0,0,1] op_sel_hi:[1,1,0] neg_lo:[0,1,0] neg_hi:[0,1,0]
	v_pk_fma_f16 v61, 0xb3a8bb7b, v30, v8 op_sel:[0,0,1] op_sel_hi:[1,1,0]
	v_fma_f16 v8, v46, 0xbbc4, -v65
	v_mul_f16_e32 v88, 0x394e, v53
	v_fma_f16 v92, v46, 0xb9fd, -v84
	v_fmamk_f16 v97, v31, 0x388b, v78
	v_add_f16_e32 v7, v42, v7
	v_fmamk_f16 v98, v31, 0xb5ac, v90
	v_add_f16_e32 v91, v42, v91
	v_lshrrev_b32_e32 v101, 16, v75
	v_pk_add_f16 v38, v14, v15
	v_pk_add_f16 v37, v15, v14 neg_lo:[0,1] neg_hi:[0,1]
	v_lshrrev_b32_e32 v51, 16, v35
	v_pk_mul_f16 v24, 0xb9fd3b15, v36
	v_lshrrev_b32_e32 v44, 16, v36
	v_mul_f16_e32 v58, 0x3770, v35
	v_mul_f16_e32 v66, 0xb3a8, v52
	v_pk_fma_f16 v67, 0x3b7bb3a8, v32, v23 op_sel:[0,0,1] op_sel_hi:[1,1,0] neg_lo:[0,1,0] neg_hi:[0,1,0]
	v_pk_fma_f16 v69, 0x3b7bb3a8, v32, v23 op_sel:[0,0,1] op_sel_hi:[1,1,0]
	v_fma_f16 v23, v45, 0xb5ac, -v59
	v_mul_f16_e32 v87, 0x3770, v52
	v_fma_f16 v93, v45, 0x3b15, -v82
	v_fmamk_f16 v99, v34, 0xb5ac, v79
	v_fmamk_f16 v100, v34, 0xb9fd, v88
	v_lshrrev_b32_e32 v102, 16, v61
	v_add_f16_e32 v105, v42, v72
	v_add_f16_e32 v97, v39, v97
	;; [unrolled: 1-line block ×6, first 2 shown]
	v_pk_add_f16 v41, v13, v16
	v_pk_add_f16 v40, v16, v13 neg_lo:[0,1] neg_hi:[0,1]
	v_mul_f16_e32 v80, 0xbbf1, v35
	v_lshrrev_b32_e32 v50, 16, v37
	v_pk_mul_f16 v25, 0x2fb7388b, v38
	v_mul_f16_e32 v64, 0x394e, v51
	v_pk_fma_f16 v73, 0x3770394e, v35, v24 op_sel:[0,0,1] op_sel_hi:[1,1,0] neg_lo:[0,1,0] neg_hi:[0,1,0]
	v_pk_fma_f16 v76, 0x3770394e, v35, v24 op_sel:[0,0,1] op_sel_hi:[1,1,0]
	v_fma_f16 v24, v44, 0x3b15, -v58
	v_mul_f16_e32 v85, 0xbbf1, v51
	v_fmamk_f16 v103, v33, 0xbbc4, v66
	v_fmamk_f16 v104, v33, 0x3b15, v87
	v_lshrrev_b32_e32 v106, 16, v69
	v_add_f16_e32 v98, v60, v105
	v_add_f16_e32 v97, v99, v97
	;; [unrolled: 1-line block ×6, first 2 shown]
	v_lshrrev_b32_e32 v43, 16, v38
	v_mul_f16_e32 v56, 0xba95, v37
	v_mul_f16_e32 v63, 0x33a8, v37
	v_lshrrev_b32_e32 v49, 16, v40
	v_pk_mul_f16 v26, 0x3b15b9fd, v41
	v_fma_f16 v94, v44, 0x2fb7, -v80
	v_mul_f16_e32 v62, 0x3bf1, v50
	v_pk_fma_f16 v74, 0xba953bf1, v37, v25 op_sel:[0,0,1] op_sel_hi:[1,1,0]
	v_mul_f16_e32 v86, 0x33a8, v50
	v_fmamk_f16 v107, v36, 0xb9fd, v64
	v_fmamk_f16 v108, v36, 0x2fb7, v85
	v_lshrrev_b32_e32 v110, 16, v76
	v_add_f16_e32 v92, v67, v98
	v_add_f16_e32 v93, v103, v97
	;; [unrolled: 1-line block ×5, first 2 shown]
	v_lshrrev_b32_e32 v47, 16, v41
	v_mul_f16_e32 v57, 0xb94e, v40
	v_mul_f16_e32 v81, 0x3a95, v40
	v_pk_fma_f16 v70, 0xba953bf1, v37, v25 op_sel:[0,0,1] op_sel_hi:[1,1,0] neg_lo:[0,1,0] neg_hi:[0,1,0]
	v_fma_f16 v25, v43, 0x388b, -v56
	v_fma_f16 v95, v43, 0xbbc4, -v63
	v_mul_f16_e32 v55, 0x3770, v49
	v_pk_fma_f16 v71, 0xb94e3770, v40, v26 op_sel:[0,0,1] op_sel_hi:[1,1,0]
	v_mul_f16_e32 v89, 0x3a95, v49
	v_fmamk_f16 v109, v38, 0x2fb7, v62
	v_fmamk_f16 v111, v38, 0xbbc4, v86
	v_lshrrev_b32_e32 v113, 16, v74
	v_add_f16_e32 v23, v94, v23
	v_add_f16_e32 v91, v73, v92
	;; [unrolled: 1-line block ×5, first 2 shown]
	v_pk_fma_f16 v68, 0xb94e3770, v40, v26 op_sel:[0,0,1] op_sel_hi:[1,1,0] neg_lo:[0,1,0] neg_hi:[0,1,0]
	v_fma_f16 v26, v47, 0xb9fd, -v57
	v_fma_f16 v96, v47, 0x388b, -v81
	v_fmamk_f16 v112, v41, 0x3b15, v55
	v_lshrrev_b32_e32 v114, 16, v71
	v_fmamk_f16 v115, v41, 0x388b, v89
	v_add_f16_e32 v7, v25, v7
	v_add_f16_e32 v25, v70, v91
	;; [unrolled: 1-line block ×12, first 2 shown]
	v_cmpx_gt_u32_e32 30, v3
	s_cbranch_execz .LBB0_20
; %bb.19:
	v_mul_f16_e32 v91, 0xb94e, v29
	v_mul_f16_e32 v95, 0x3bf1, v30
	;; [unrolled: 1-line block ×5, first 2 shown]
	v_fmamk_f16 v96, v48, 0xb9fd, v91
	v_fmamk_f16 v100, v46, 0x2fb7, v95
	;; [unrolled: 1-line block ×3, first 2 shown]
	v_mul_f16_e32 v98, 0xb5ac, v48
	v_fma_f16 v106, v31, 0xb9fd, -v103
	v_add_f16_e32 v96, v42, v96
	v_mul_f16_e32 v107, 0x3bf1, v53
	v_mul_f16_e32 v94, 0x2fb7, v48
	;; [unrolled: 1-line block ×3, first 2 shown]
	v_add_f16_e32 v106, v39, v106
	v_add_f16_e32 v96, v100, v96
	v_mul_f16_e32 v100, 0x33a8, v35
	v_fma_f16 v109, v34, 0x2fb7, -v107
	v_mul_f16_e32 v110, 0xba95, v52
	v_mul_f16_e32 v111, 0xb9fd, v46
	v_add_f16_e32 v96, v104, v96
	v_fmamk_f16 v104, v44, 0xbbc4, v100
	v_add_f16_e32 v83, v83, v98
	v_mul_f16_e32 v102, 0xbbc4, v46
	v_mul_f16_e32 v105, 0xb9fd, v34
	v_add_f16_e32 v106, v109, v106
	v_add_f16_e32 v96, v104, v96
	v_fmamk_f16 v104, v43, 0x3b15, v108
	v_fma_f16 v109, v33, 0x388b, -v110
	v_mul_f16_e32 v112, 0x33a8, v51
	v_add_f16_e32 v84, v84, v111
	v_add_f16_e32 v83, v42, v83
	;; [unrolled: 1-line block ×3, first 2 shown]
	v_mul_f16_e32 v104, 0xbb7b, v40
	v_sub_f16_e32 v90, v97, v90
	v_add_f16_e32 v77, v77, v94
	v_add_f16_e32 v106, v109, v106
	v_fma_f16 v109, v36, 0xbbc4, -v112
	v_fmamk_f16 v98, v47, 0xb5ac, v104
	v_mul_f16_e32 v114, 0x3770, v50
	v_mul_f16_e32 v115, 0xb5ac, v45
	v_mul_f16_e32 v111, 0x3b15, v33
	v_add_f16_e32 v83, v84, v83
	v_add_f16_e32 v96, v98, v96
	v_mul_f16_e32 v98, 0x3b15, v45
	v_mul_f16_e32 v97, 0x2fb7, v44
	v_sub_f16_e32 v88, v105, v88
	v_add_f16_e32 v90, v39, v90
	v_add_f16_e32 v65, v65, v102
	;; [unrolled: 1-line block ×5, first 2 shown]
	v_fma_f16 v109, v38, 0x3b15, -v114
	v_mul_f16_e32 v84, 0x3b15, v44
	v_mul_f16_e32 v98, 0x2fb7, v36
	v_add_f16_e32 v82, v82, v83
	v_add_f16_e32 v80, v80, v97
	;; [unrolled: 1-line block ×3, first 2 shown]
	v_sub_f16_e32 v87, v111, v87
	v_mul_f16_e32 v111, 0xbb7b, v49
	v_add_f16_e32 v65, v65, v77
	v_add_f16_e32 v59, v59, v115
	;; [unrolled: 1-line block ×3, first 2 shown]
	v_mul_f16_e32 v105, 0x388b, v43
	v_mul_f16_e32 v83, 0xbbc4, v38
	;; [unrolled: 1-line block ×3, first 2 shown]
	v_add_f16_e32 v80, v80, v82
	v_fma_f16 v82, v41, 0xb5ac, -v111
	v_add_f16_e32 v87, v87, v88
	v_sub_f16_e32 v85, v98, v85
	v_add_f16_e32 v59, v59, v65
	v_add_f16_e32 v58, v58, v84
	v_mul_f16_e32 v93, 0x388b, v31
	v_mul_f16_e32 v90, 0xb9fd, v47
	;; [unrolled: 1-line block ×4, first 2 shown]
	v_add_f16_e32 v63, v63, v102
	v_add_f16_e32 v65, v82, v106
	;; [unrolled: 1-line block ×3, first 2 shown]
	v_sub_f16_e32 v83, v83, v86
	v_add_f16_e32 v58, v58, v59
	v_add_f16_e32 v56, v56, v105
	v_mul_f16_e32 v101, 0xb5ac, v34
	v_add_f16_e32 v63, v63, v80
	v_add_f16_e32 v59, v81, v115
	;; [unrolled: 1-line block ×3, first 2 shown]
	v_sub_f16_e32 v77, v77, v89
	v_sub_f16_e32 v78, v93, v78
	v_add_f16_e32 v56, v56, v58
	v_add_f16_e32 v57, v57, v90
	v_mul_f16_e32 v113, 0xbbc4, v33
	v_add_f16_e32 v58, v59, v63
	v_add_f16_e32 v59, v77, v80
	;; [unrolled: 1-line block ×3, first 2 shown]
	v_sub_f16_e32 v77, v101, v79
	v_add_f16_e32 v56, v57, v56
	v_bfi_b32 v57, 0xffff, v75, v72
	v_mul_f16_e32 v72, 0xb770, v29
	v_mul_f16_e32 v109, 0xb9fd, v36
	v_bfi_b32 v60, 0xffff, v61, v60
	v_add_f16_e32 v61, v77, v63
	v_sub_f16_e32 v63, v113, v66
	v_bfi_b32 v66, 0xffff, v69, v67
	v_fmamk_f16 v67, v48, 0x3b15, v72
	v_mul_f16_e32 v69, 0xba95, v30
	v_mul_f16_e32 v94, 0x2fb7, v38
	v_add_f16_e32 v61, v63, v61
	v_sub_f16_e32 v63, v109, v64
	v_add_f16_e32 v64, v42, v67
	v_fmamk_f16 v67, v46, 0x388b, v69
	v_mul_f16_e32 v75, 0xbbf1, v32
	v_sub_f16_e32 v62, v94, v62
	v_add_f16_e32 v61, v63, v61
	v_mul_f16_e32 v54, 0xb770, v54
	v_add_f16_e32 v63, v67, v64
	v_fmamk_f16 v64, v45, 0x2fb7, v75
	v_mul_f16_e32 v67, 0xbb7b, v35
	v_mul_f16_e32 v97, 0x3b15, v41
	v_bfi_b32 v68, 0xffff, v71, v68
	v_add_f16_e32 v61, v62, v61
	v_add_f16_e32 v62, v64, v63
	v_fmamk_f16 v63, v44, 0xb5ac, v67
	v_mul_f16_e32 v64, 0xb94e, v37
	v_fma_f16 v71, v31, 0x3b15, -v54
	v_mul_f16_e32 v53, 0xba95, v53
	v_bfi_b32 v70, 0xffff, v74, v70
	v_sub_f16_e32 v55, v97, v55
	v_add_f16_e32 v62, v63, v62
	v_fmamk_f16 v63, v43, 0xb9fd, v64
	v_add_f16_e32 v71, v39, v71
	v_fma_f16 v74, v34, 0x388b, -v53
	v_mul_f16_e32 v52, 0xbbf1, v52
	v_pk_add_f16 v19, v39, v19
	v_add_f16_e32 v55, v55, v61
	v_add_f16_e32 v61, v63, v62
	;; [unrolled: 1-line block ×3, first 2 shown]
	v_fma_f16 v71, v33, 0x2fb7, -v52
	v_mul_f16_e32 v51, 0xbb7b, v51
	v_pk_add_f16 v19, v19, v20
	v_mul_f16_e32 v50, 0xb94e, v50
	v_fma_f16 v62, v48, 0xb9fd, -v91
	v_add_f16_e32 v63, v71, v63
	v_fma_f16 v71, v36, 0xb5ac, -v51
	v_pk_add_f16 v17, v19, v17
	v_fmac_f16_e32 v103, 0xb9fd, v31
	v_fma_f16 v48, v48, 0x3b15, -v72
	v_fmac_f16_e32 v54, 0x3b15, v31
	v_add_f16_e32 v63, v71, v63
	v_fma_f16 v71, v38, 0xb9fd, -v50
	v_pk_add_f16 v17, v17, v18
	v_alignbit_b32 v92, v39, v39, 16
	v_bfi_b32 v73, 0xffff, v76, v73
	v_add_f16_e32 v62, v42, v62
	v_fma_f16 v76, v46, 0x2fb7, -v95
	v_add_f16_e32 v63, v71, v63
	v_add_f16_e32 v71, v39, v103
	;; [unrolled: 1-line block ×3, first 2 shown]
	v_fma_f16 v46, v46, 0x388b, -v69
	v_add_f16_e32 v39, v39, v54
	v_fmac_f16_e32 v53, 0x388b, v34
	v_pk_add_f16 v15, v17, v15
	v_fmac_f16_e32 v107, 0x2fb7, v34
	v_add_f16_e32 v19, v46, v42
	v_fma_f16 v42, v45, 0x2fb7, -v75
	v_add_f16_e32 v18, v53, v39
	v_fmac_f16_e32 v52, 0x2fb7, v33
	v_pk_add_f16 v15, v15, v16
	v_add_f16_e32 v71, v107, v71
	v_fmac_f16_e32 v110, 0x388b, v33
	v_add_f16_e32 v19, v42, v19
	v_fma_f16 v17, v44, 0xb5ac, -v67
	v_add_f16_e32 v18, v52, v18
	v_fmac_f16_e32 v51, 0xb5ac, v36
	v_pk_add_f16 v13, v15, v13
	v_mul_f16_e32 v74, 0xb3a8, v40
	v_mul_f16_e32 v49, 0xb3a8, v49
	v_add_f16_e32 v71, v110, v71
	v_fmac_f16_e32 v112, 0xbbc4, v36
	v_add_f16_e32 v16, v17, v19
	v_fma_f16 v17, v43, 0xb9fd, -v64
	v_add_f16_e32 v18, v51, v18
	v_fmac_f16_e32 v50, 0xb9fd, v38
	v_pk_add_f16 v13, v13, v14
	v_fma_f16 v78, v41, 0xbbc4, -v49
	v_add_f16_e32 v20, v112, v71
	v_fmac_f16_e32 v114, 0x3b15, v38
	v_add_f16_e32 v16, v17, v16
	v_fma_f16 v17, v47, 0xbbc4, -v74
	v_add_f16_e32 v18, v50, v18
	v_fmac_f16_e32 v49, 0xbbc4, v41
	v_pk_mul_f16 v19, 0xbbc4, v31 op_sel_hi:[0,1]
	v_pk_add_f16 v11, v13, v11
	v_add_f16_e32 v20, v114, v20
	v_fmac_f16_e32 v111, 0xb5ac, v41
	v_mul_u32_u24_e32 v14, 48, v3
	v_add_f16_e32 v16, v17, v16
	v_add_f16_e32 v13, v49, v18
	v_pk_fma_f16 v17, 0xb3a8, v29, v19 op_sel:[0,0,1] op_sel_hi:[0,1,0] neg_lo:[0,1,0] neg_hi:[0,1,0]
	v_pk_mul_f16 v18, 0x3b15, v34 op_sel_hi:[0,1]
	v_pk_add_f16 v11, v11, v12
	v_pk_fma_f16 v12, 0xb3a8, v29, v19 op_sel:[0,0,1] op_sel_hi:[0,1,0]
	v_pk_add_f16 v19, v92, v57
	v_add_f16_e32 v15, v111, v20
	v_add3_u32 v14, v28, v14, v22
	v_pk_add_f16 v17, v92, v17
	v_pk_fma_f16 v20, 0x3770, v30, v18 op_sel:[0,0,1] op_sel_hi:[0,1,0] neg_lo:[0,1,0] neg_hi:[0,1,0]
	v_pk_mul_f16 v28, 0xb9fd, v33 op_sel_hi:[0,1]
	v_pk_add_f16 v12, v92, v12
	v_pk_fma_f16 v18, 0x3770, v30, v18 op_sel:[0,0,1] op_sel_hi:[0,1,0]
	v_pk_add_f16 v19, v60, v19
	v_pk_add_f16 v17, v20, v17
	v_pk_fma_f16 v20, 0xb94e, v32, v28 op_sel:[0,0,1] op_sel_hi:[0,1,0] neg_lo:[0,1,0] neg_hi:[0,1,0]
	v_pk_mul_f16 v29, 0x388b, v36 op_sel_hi:[0,1]
	v_pk_add_f16 v12, v18, v12
	v_pk_fma_f16 v18, 0xb94e, v32, v28 op_sel:[0,0,1] op_sel_hi:[0,1,0]
	v_add_f16_e32 v62, v76, v62
	v_fma_f16 v76, v45, 0x388b, -v99
	v_pk_add_f16 v19, v66, v19
	v_pk_add_f16 v17, v20, v17
	v_pk_fma_f16 v20, 0x3a95, v35, v29 op_sel:[0,0,1] op_sel_hi:[0,1,0] neg_lo:[0,1,0] neg_hi:[0,1,0]
	v_pk_mul_f16 v28, 0xb5ac, v38 op_sel_hi:[0,1]
	v_pk_add_f16 v12, v18, v12
	v_pk_fma_f16 v18, 0x3a95, v35, v29 op_sel:[0,0,1] op_sel_hi:[0,1,0]
	v_add_f16_e32 v62, v76, v62
	v_fma_f16 v76, v44, 0xbbc4, -v100
	;; [unrolled: 8-line block ×3, first 2 shown]
	v_fmamk_f16 v77, v47, 0xbbc4, v74
	v_pk_add_f16 v9, v11, v9
	v_pk_add_f16 v11, v70, v19
	;; [unrolled: 1-line block ×3, first 2 shown]
	v_pk_fma_f16 v19, 0x3bf1, v40, v29 op_sel:[0,0,1] op_sel_hi:[0,1,0] neg_lo:[0,1,0] neg_hi:[0,1,0]
	v_pk_add_f16 v12, v18, v12
	v_pk_fma_f16 v18, 0x3bf1, v40, v29 op_sel:[0,0,1] op_sel_hi:[0,1,0]
	v_add_f16_e32 v62, v76, v62
	v_fma_f16 v76, v47, 0xb5ac, -v104
	v_add_f16_e32 v61, v77, v61
	v_add_f16_e32 v63, v78, v63
	v_pk_add_f16 v11, v68, v11
	v_pk_add_f16 v17, v19, v17
	;; [unrolled: 1-line block ×3, first 2 shown]
	v_add_f16_e32 v62, v76, v62
	v_pk_add_f16 v9, v9, v10
	v_pack_b32_f16 v10, v63, v61
	v_alignbit_b32 v18, v56, v11, 16
	v_pack_b32_f16 v11, v55, v11
	v_pack_b32_f16 v19, v59, v58
	;; [unrolled: 1-line block ×3, first 2 shown]
	v_alignbit_b32 v28, v17, v12, 16
	v_alignbit_b32 v12, v12, v17, 16
	v_pack_b32_f16 v15, v15, v62
	v_perm_b32 v17, v23, v7, 0x5040100
	v_perm_b32 v29, v25, v24, 0x5040100
	;; [unrolled: 1-line block ×3, first 2 shown]
	v_pack_b32_f16 v13, v13, v16
	ds_store_2addr_b32 v14, v9, v10 offset1:1
	ds_store_2addr_b32 v14, v11, v18 offset0:2 offset1:3
	ds_store_2addr_b32 v14, v19, v20 offset0:4 offset1:5
	;; [unrolled: 1-line block ×5, first 2 shown]
	ds_store_b32 v14, v13 offset:48
.LBB0_20:
	s_wait_alu 0xfffe
	s_or_b32 exec_lo, exec_lo, s1
	v_add_nc_u32_e32 v9, 0x200, v4
	global_wb scope:SCOPE_SE
	s_wait_dscnt 0x0
	s_barrier_signal -1
	s_barrier_wait -1
	global_inv scope:SCOPE_SE
	ds_load_b32 v17, v21
	ds_load_2addr_b32 v[15:16], v4 offset0:130 offset1:169
	ds_load_2addr_b32 v[11:12], v9 offset0:80 offset1:132
	;; [unrolled: 1-line block ×4, first 2 shown]
	v_cmp_gt_u32_e64 s0, 13, v3
	s_delay_alu instid0(VALU_DEP_1)
	s_and_saveexec_b32 s1, s0
	s_cbranch_execz .LBB0_22
; %bb.21:
	ds_load_2addr_b32 v[7:8], v4 offset0:117 offset1:247
	ds_load_b32 v24, v4 offset:1508
	s_wait_dscnt 0x1
	v_lshrrev_b32_e32 v23, 16, v7
	s_wait_dscnt 0x0
	v_lshrrev_b32_e32 v25, 16, v24
	v_lshrrev_b32_e32 v26, 16, v8
.LBB0_22:
	s_wait_alu 0xfffe
	s_or_b32 exec_lo, exec_lo, s1
	v_and_b32_e32 v18, 0xff, v3
	v_add_nc_u16 v19, v3, 39
	v_add_nc_u16 v20, v3, 0x4e
	s_wait_dscnt 0x3
	v_lshrrev_b32_e32 v39, 16, v15
	s_wait_dscnt 0x2
	v_lshrrev_b32_e32 v40, 16, v12
	v_mul_lo_u16 v18, 0x4f, v18
	v_and_b32_e32 v27, 0xff, v19
	v_lshrrev_b32_e32 v41, 16, v16
	s_wait_dscnt 0x0
	v_lshrrev_b32_e32 v42, 16, v13
	v_lshrrev_b32_e32 v43, 16, v11
	v_lshrrev_b16 v31, 10, v18
	v_and_b32_e32 v18, 0xff, v20
	v_mul_lo_u16 v27, 0x4f, v27
	v_lshrrev_b32_e32 v44, 16, v14
	v_lshrrev_b32_e32 v36, 16, v17
	v_mul_lo_u16 v28, v31, 13
	v_mul_lo_u16 v18, 0x4f, v18
	v_lshrrev_b16 v32, 10, v27
	v_and_b32_e32 v31, 0xffff, v31
	v_lshrrev_b32_e32 v37, 16, v9
	v_sub_nc_u16 v27, v3, v28
	v_lshrrev_b16 v33, 10, v18
	v_mul_lo_u16 v18, v32, 13
	v_mad_u32_u24 v31, 0x9c, v31, 0
	v_and_b32_e32 v32, 0xffff, v32
	v_and_b32_e32 v34, 0xff, v27
	v_mul_lo_u16 v27, v33, 13
	v_sub_nc_u16 v18, v19, v18
	v_and_b32_e32 v33, 0xffff, v33
	v_mad_u32_u24 v32, 0x9c, v32, 0
	v_lshlrev_b32_e32 v19, 3, v34
	v_sub_nc_u16 v20, v20, v27
	v_and_b32_e32 v35, 0xff, v18
	v_lshlrev_b32_e32 v34, 2, v34
	v_mad_u32_u24 v33, 0x9c, v33, 0
	global_load_b64 v[18:19], v19, s[8:9]
	v_and_b32_e32 v20, 0xff, v20
	v_lshlrev_b32_e32 v27, 3, v35
	v_add3_u32 v31, v31, v34, v22
	v_lshlrev_b32_e32 v34, 2, v35
	v_lshrrev_b32_e32 v38, 16, v10
	v_lshlrev_b32_e32 v29, 3, v20
	v_lshlrev_b32_e32 v20, 2, v20
	s_clause 0x1
	global_load_b64 v[27:28], v27, s[8:9]
	global_load_b64 v[29:30], v29, s[8:9]
	v_add3_u32 v32, v32, v34, v22
	v_add3_u32 v20, v33, v20, v22
	global_wb scope:SCOPE_SE
	s_wait_loadcnt 0x0
	s_barrier_signal -1
	s_barrier_wait -1
	global_inv scope:SCOPE_SE
	v_lshrrev_b32_e32 v35, 16, v18
	v_lshrrev_b32_e32 v45, 16, v19
	s_delay_alu instid0(VALU_DEP_2) | instskip(SKIP_1) | instid1(VALU_DEP_3)
	v_mul_f16_e32 v33, v35, v39
	v_mul_f16_e32 v34, v35, v15
	;; [unrolled: 1-line block ×4, first 2 shown]
	v_lshrrev_b32_e32 v46, 16, v27
	v_lshrrev_b32_e32 v47, 16, v28
	v_lshrrev_b32_e32 v48, 16, v29
	v_lshrrev_b32_e32 v49, 16, v30
	v_fma_f16 v15, v18, v15, -v33
	v_fmac_f16_e32 v34, v18, v39
	v_fma_f16 v12, v19, v12, -v35
	v_fmac_f16_e32 v45, v19, v40
	v_mul_f16_e32 v18, v46, v41
	v_mul_f16_e32 v19, v46, v16
	;; [unrolled: 1-line block ×8, first 2 shown]
	v_fma_f16 v16, v27, v16, -v18
	v_fmac_f16_e32 v19, v27, v41
	v_fma_f16 v13, v28, v13, -v33
	v_fmac_f16_e32 v35, v28, v42
	;; [unrolled: 2-line block ×4, first 2 shown]
	v_add_f16_e32 v18, v17, v15
	v_add_f16_e32 v27, v15, v12
	;; [unrolled: 1-line block ×4, first 2 shown]
	v_sub_f16_e32 v28, v34, v45
	v_sub_f16_e32 v15, v15, v12
	v_add_f16_e32 v12, v18, v12
	v_fmac_f16_e32 v17, -0.5, v27
	v_add_f16_e32 v18, v29, v45
	v_fmac_f16_e32 v36, -0.5, v30
	v_add_f16_e32 v29, v16, v13
	v_sub_f16_e32 v30, v19, v35
	v_add_f16_e32 v33, v37, v19
	v_add_f16_e32 v19, v19, v35
	;; [unrolled: 1-line block ×3, first 2 shown]
	v_sub_f16_e32 v41, v40, v47
	v_add_f16_e32 v42, v38, v40
	v_add_f16_e32 v40, v40, v47
	v_add_f16_e32 v27, v9, v16
	v_sub_f16_e32 v16, v16, v13
	v_fmamk_f16 v43, v28, 0x3aee, v17
	v_fmac_f16_e32 v17, 0xbaee, v28
	v_fmamk_f16 v28, v15, 0xbaee, v36
	v_fma_f16 v9, -0.5, v29, v9
	v_fmac_f16_e32 v37, -0.5, v19
	v_add_f16_e32 v34, v10, v11
	v_sub_f16_e32 v11, v11, v14
	v_fmac_f16_e32 v10, -0.5, v39
	v_fmac_f16_e32 v38, -0.5, v40
	v_fmac_f16_e32 v36, 0x3aee, v15
	v_add_f16_e32 v13, v27, v13
	v_add_f16_e32 v15, v33, v35
	v_pack_b32_f16 v12, v12, v18
	v_fmamk_f16 v18, v30, 0x3aee, v9
	v_fmamk_f16 v27, v16, 0xbaee, v37
	v_pack_b32_f16 v28, v43, v28
	v_fmac_f16_e32 v9, 0xbaee, v30
	v_fmac_f16_e32 v37, 0x3aee, v16
	v_add_f16_e32 v14, v34, v14
	v_add_f16_e32 v19, v42, v47
	v_fmamk_f16 v16, v41, 0x3aee, v10
	v_fmamk_f16 v29, v11, 0xbaee, v38
	v_fmac_f16_e32 v10, 0xbaee, v41
	v_fmac_f16_e32 v38, 0x3aee, v11
	v_pack_b32_f16 v11, v17, v36
	v_pack_b32_f16 v13, v13, v15
	ds_store_2addr_b32 v31, v12, v28 offset1:13
	v_pack_b32_f16 v12, v18, v27
	v_pack_b32_f16 v9, v9, v37
	;; [unrolled: 1-line block ×5, first 2 shown]
	ds_store_b32 v31, v11 offset:104
	ds_store_2addr_b32 v32, v13, v12 offset1:13
	ds_store_b32 v32, v9 offset:104
	ds_store_2addr_b32 v20, v14, v15 offset1:13
	ds_store_b32 v20, v10 offset:104
	s_and_saveexec_b32 s1, s0
	s_cbranch_execz .LBB0_24
; %bb.23:
	v_add_nc_u16 v9, v3, 0x75
	s_delay_alu instid0(VALU_DEP_1) | instskip(NEXT) | instid1(VALU_DEP_1)
	v_and_b32_e32 v10, 0xff, v9
	v_mul_lo_u16 v10, 0x4f, v10
	s_delay_alu instid0(VALU_DEP_1) | instskip(NEXT) | instid1(VALU_DEP_1)
	v_lshrrev_b16 v10, 10, v10
	v_mul_lo_u16 v10, v10, 13
	s_delay_alu instid0(VALU_DEP_1) | instskip(NEXT) | instid1(VALU_DEP_1)
	v_sub_nc_u16 v9, v9, v10
	v_and_b32_e32 v11, 0xff, v9
	s_delay_alu instid0(VALU_DEP_1)
	v_lshlrev_b32_e32 v9, 3, v11
	v_lshlrev_b32_e32 v11, 2, v11
	global_load_b64 v[9:10], v9, s[8:9]
	s_wait_loadcnt 0x0
	v_lshrrev_b32_e32 v12, 16, v9
	v_lshrrev_b32_e32 v13, 16, v10
	s_delay_alu instid0(VALU_DEP_2) | instskip(SKIP_1) | instid1(VALU_DEP_3)
	v_mul_f16_e32 v14, v26, v12
	v_mul_f16_e32 v12, v8, v12
	;; [unrolled: 1-line block ×4, first 2 shown]
	s_delay_alu instid0(VALU_DEP_4) | instskip(NEXT) | instid1(VALU_DEP_4)
	v_fma_f16 v8, v8, v9, -v14
	v_fmac_f16_e32 v12, v26, v9
	s_delay_alu instid0(VALU_DEP_4) | instskip(NEXT) | instid1(VALU_DEP_4)
	v_fmac_f16_e32 v15, v25, v10
	v_fma_f16 v9, v24, v10, -v13
	v_add3_u32 v10, 0, v11, v22
	s_delay_alu instid0(VALU_DEP_4) | instskip(NEXT) | instid1(VALU_DEP_4)
	v_add_f16_e32 v16, v23, v12
	v_add_f16_e32 v11, v12, v15
	s_delay_alu instid0(VALU_DEP_4)
	v_add_f16_e32 v14, v8, v9
	v_sub_f16_e32 v13, v8, v9
	v_add_f16_e32 v8, v7, v8
	v_sub_f16_e32 v12, v12, v15
	v_fma_f16 v11, -0.5, v11, v23
	v_fma_f16 v7, -0.5, v14, v7
	v_add_f16_e32 v14, v16, v15
	v_add_f16_e32 v8, v8, v9
	s_delay_alu instid0(VALU_DEP_4)
	v_fmamk_f16 v9, v13, 0x3aee, v11
	v_fmac_f16_e32 v11, 0xbaee, v13
	v_fmamk_f16 v13, v12, 0xbaee, v7
	v_fmac_f16_e32 v7, 0x3aee, v12
	v_add_nc_u32_e32 v12, 0x400, v10
	v_pack_b32_f16 v8, v8, v14
	s_delay_alu instid0(VALU_DEP_4) | instskip(NEXT) | instid1(VALU_DEP_4)
	v_pack_b32_f16 v9, v13, v9
	v_pack_b32_f16 v7, v7, v11
	ds_store_2addr_b32 v12, v8, v7 offset0:95 offset1:108
	ds_store_b32 v10, v9 offset:1508
.LBB0_24:
	s_wait_alu 0xfffe
	s_or_b32 exec_lo, exec_lo, s1
	v_mul_u32_u24_e32 v7, 9, v3
	global_wb scope:SCOPE_SE
	s_wait_dscnt 0x0
	s_barrier_signal -1
	s_barrier_wait -1
	global_inv scope:SCOPE_SE
	v_lshlrev_b32_e32 v15, 2, v7
	v_add_nc_u32_e32 v26, 0x400, v4
	v_add_nc_u32_e32 v27, 0x200, v4
	s_clause 0x2
	global_load_b128 v[7:10], v15, s[8:9] offset:104
	global_load_b128 v[11:14], v15, s[8:9] offset:120
	global_load_b32 v23, v15, s[8:9] offset:136
	ds_load_2addr_b32 v[15:16], v4 offset0:39 offset1:78
	ds_load_b32 v24, v21
	ds_load_2addr_b32 v[17:18], v4 offset0:195 offset1:234
	ds_load_b32 v25, v4 offset:1404
	ds_load_2addr_b32 v[19:20], v4 offset0:117 offset1:156
	ds_load_2addr_b32 v[21:22], v26 offset0:17 offset1:56
	global_wb scope:SCOPE_SE
	s_wait_loadcnt_dscnt 0x0
	s_barrier_signal -1
	s_barrier_wait -1
	global_inv scope:SCOPE_SE
	v_lshrrev_b32_e32 v31, 16, v15
	v_lshrrev_b32_e32 v32, 16, v16
	;; [unrolled: 1-line block ×19, first 2 shown]
	v_mul_f16_e32 v47, v38, v31
	v_mul_f16_e32 v38, v38, v15
	;; [unrolled: 1-line block ×18, first 2 shown]
	v_fma_f16 v15, v7, v15, -v47
	v_fmac_f16_e32 v38, v7, v31
	v_fma_f16 v7, v8, v16, -v48
	v_fmac_f16_e32 v39, v8, v32
	;; [unrolled: 2-line block ×9, first 2 shown]
	v_add_f16_e32 v16, v24, v7
	v_add_f16_e32 v17, v9, v11
	v_sub_f16_e32 v18, v39, v45
	v_sub_f16_e32 v20, v7, v9
	;; [unrolled: 1-line block ×3, first 2 shown]
	v_add_f16_e32 v22, v7, v13
	v_add_f16_e32 v29, v28, v39
	;; [unrolled: 1-line block ×3, first 2 shown]
	v_sub_f16_e32 v32, v39, v41
	v_add_f16_e32 v34, v39, v45
	v_sub_f16_e32 v35, v41, v39
	v_add_f16_e32 v37, v15, v8
	v_add_f16_e32 v39, v10, v12
	;; [unrolled: 1-line block ×5, first 2 shown]
	v_sub_f16_e32 v23, v9, v7
	v_sub_f16_e32 v25, v11, v13
	;; [unrolled: 1-line block ×7, first 2 shown]
	v_add_f16_e32 v54, v38, v40
	v_sub_f16_e32 v8, v8, v14
	v_sub_f16_e32 v56, v10, v12
	v_add_f16_e32 v9, v16, v9
	v_fma_f16 v16, -0.5, v17, v24
	v_add_f16_e32 v17, v20, v21
	v_fmac_f16_e32 v24, -0.5, v22
	v_add_f16_e32 v21, v29, v41
	v_fma_f16 v22, -0.5, v30, v28
	v_fmac_f16_e32 v28, -0.5, v34
	v_add_f16_e32 v10, v37, v10
	v_fma_f16 v29, -0.5, v39, v15
	v_fma_f16 v34, -0.5, v55, v38
	v_sub_f16_e32 v48, v42, v44
	v_fmac_f16_e32 v15, -0.5, v51
	v_fmac_f16_e32 v38, -0.5, v59
	v_sub_f16_e32 v36, v43, v45
	v_sub_f16_e32 v50, v14, v12
	;; [unrolled: 1-line block ×7, first 2 shown]
	v_add_f16_e32 v20, v23, v25
	v_add_f16_e32 v23, v32, v33
	;; [unrolled: 1-line block ×4, first 2 shown]
	v_fmamk_f16 v12, v47, 0x3b9c, v29
	v_fmamk_f16 v42, v8, 0xbb9c, v34
	v_sub_f16_e32 v19, v41, v43
	v_add_f16_e32 v21, v21, v43
	v_fmamk_f16 v41, v48, 0xbb9c, v15
	v_fmac_f16_e32 v15, 0x3b9c, v48
	v_fmamk_f16 v43, v56, 0x3b9c, v38
	v_fmac_f16_e32 v38, 0xbb9c, v56
	v_sub_f16_e32 v7, v7, v13
	v_fmac_f16_e32 v29, 0xbb9c, v47
	v_fmac_f16_e32 v34, 0x3b9c, v8
	v_add_f16_e32 v25, v35, v36
	v_add_f16_e32 v30, v49, v50
	v_add_f16_e32 v35, v57, v58
	v_add_f16_e32 v36, v40, v60
	v_add_f16_e32 v9, v9, v11
	v_fmamk_f16 v40, v31, 0x3b9c, v28
	v_fmac_f16_e32 v28, 0xbb9c, v31
	v_add_f16_e32 v33, v33, v44
	v_fmac_f16_e32 v12, 0x38b4, v48
	v_fmac_f16_e32 v42, 0xb8b4, v56
	v_add_f16_e32 v32, v52, v53
	v_fmamk_f16 v11, v18, 0x3b9c, v16
	v_fmac_f16_e32 v16, 0xbb9c, v18
	v_fmamk_f16 v37, v19, 0xbb9c, v24
	v_fmac_f16_e32 v24, 0x3b9c, v19
	v_fmac_f16_e32 v41, 0x38b4, v47
	;; [unrolled: 1-line block ×5, first 2 shown]
	v_fmamk_f16 v39, v7, 0xbb9c, v22
	v_fmac_f16_e32 v22, 0x3b9c, v7
	v_fmac_f16_e32 v29, 0xb8b4, v48
	;; [unrolled: 1-line block ×3, first 2 shown]
	v_add_f16_e32 v9, v9, v13
	v_add_f16_e32 v13, v21, v45
	v_fmac_f16_e32 v40, 0xb8b4, v7
	v_fmac_f16_e32 v28, 0x38b4, v7
	v_add_f16_e32 v7, v10, v14
	v_add_f16_e32 v10, v33, v46
	v_fmac_f16_e32 v12, 0x34f2, v30
	v_fmac_f16_e32 v42, 0x34f2, v35
	;; [unrolled: 1-line block ×14, first 2 shown]
	v_add_f16_e32 v8, v9, v7
	v_add_f16_e32 v14, v13, v10
	v_sub_f16_e32 v7, v9, v7
	v_sub_f16_e32 v9, v13, v10
	v_mul_f16_e32 v10, 0x38b4, v42
	v_mul_f16_e32 v19, 0xb8b4, v12
	v_fmac_f16_e32 v11, 0x34f2, v17
	v_fmac_f16_e32 v16, 0x34f2, v17
	;; [unrolled: 1-line block ×4, first 2 shown]
	v_mul_f16_e32 v13, 0x3b9c, v43
	v_mul_f16_e32 v17, 0x34f2, v15
	;; [unrolled: 1-line block ×4, first 2 shown]
	v_fmac_f16_e32 v39, 0x34f2, v23
	v_fmac_f16_e32 v22, 0x34f2, v23
	v_mul_f16_e32 v18, 0x3a79, v29
	v_mul_f16_e32 v23, 0x3a79, v34
	v_fmac_f16_e32 v10, 0x3a79, v12
	v_fmac_f16_e32 v19, 0x3a79, v42
	;; [unrolled: 1-line block ×4, first 2 shown]
	v_pack_b32_f16 v8, v8, v14
	v_pack_b32_f16 v7, v7, v9
	v_fmac_f16_e32 v13, 0x34f2, v41
	v_fma_f16 v9, v38, 0x3b9c, -v17
	v_fmac_f16_e32 v20, 0x34f2, v43
	v_fma_f16 v14, v15, 0xbb9c, -v21
	v_fma_f16 v12, v34, 0x38b4, -v18
	;; [unrolled: 1-line block ×3, first 2 shown]
	v_add_f16_e32 v17, v11, v10
	v_add_f16_e32 v25, v39, v19
	;; [unrolled: 1-line block ×8, first 2 shown]
	v_sub_f16_e32 v10, v11, v10
	v_sub_f16_e32 v11, v37, v13
	;; [unrolled: 1-line block ×8, first 2 shown]
	v_pack_b32_f16 v17, v17, v25
	v_pack_b32_f16 v18, v18, v29
	;; [unrolled: 1-line block ×8, first 2 shown]
	ds_store_2addr_b32 v4, v8, v17 offset1:39
	ds_store_2addr_b32 v4, v18, v19 offset0:78 offset1:117
	ds_store_2addr_b32 v4, v20, v7 offset0:156 offset1:195
	;; [unrolled: 1-line block ×4, first 2 shown]
	global_wb scope:SCOPE_SE
	s_wait_dscnt 0x0
	s_barrier_signal -1
	s_barrier_wait -1
	global_inv scope:SCOPE_SE
	s_and_saveexec_b32 s0, vcc_lo
	s_cbranch_execz .LBB0_26
; %bb.25:
	v_mul_lo_u32 v7, s3, v5
	v_mul_lo_u32 v8, s2, v6
	v_mad_co_u64_u32 v[5:6], null, s2, v5, 0
	v_mov_b32_e32 v4, 0
	v_lshl_add_u32 v29, v3, 2, v0
	v_lshlrev_b64_e32 v[0:1], 2, v[1:2]
	v_add_nc_u32_e32 v21, 0xea, v3
	v_add_nc_u32_e32 v23, 0x111, v3
	;; [unrolled: 1-line block ×3, first 2 shown]
	v_add3_u32 v6, v6, v8, v7
	v_add_nc_u32_e32 v7, 39, v3
	v_dual_mov_b32 v8, v4 :: v_dual_add_nc_u32 v9, 0x4e, v3
	v_lshlrev_b64_e32 v[15:16], 2, v[3:4]
	s_delay_alu instid0(VALU_DEP_4)
	v_lshlrev_b64_e32 v[5:6], 2, v[5:6]
	v_dual_mov_b32 v10, v4 :: v_dual_add_nc_u32 v11, 0x75, v3
	v_mov_b32_e32 v12, v4
	v_mov_b32_e32 v20, v4
	;; [unrolled: 1-line block ×3, first 2 shown]
	v_add_co_u32 v2, vcc_lo, s6, v5
	s_wait_alu 0xfffd
	v_add_co_ci_u32_e32 v5, vcc_lo, s7, v6, vcc_lo
	ds_load_2addr_b32 v[13:14], v29 offset1:39
	v_add_co_u32 v31, vcc_lo, v2, v0
	s_wait_alu 0xfffd
	v_add_co_ci_u32_e32 v32, vcc_lo, v5, v1, vcc_lo
	v_lshlrev_b64_e32 v[0:1], 2, v[7:8]
	s_delay_alu instid0(VALU_DEP_3)
	v_add_co_u32 v5, vcc_lo, v31, v15
	v_lshlrev_b64_e32 v[7:8], 2, v[9:10]
	s_wait_alu 0xfffd
	v_add_co_ci_u32_e32 v6, vcc_lo, v32, v16, vcc_lo
	v_dual_mov_b32 v16, v4 :: v_dual_add_nc_u32 v15, 0x9c, v3
	v_add_nc_u32_e32 v19, 0xc3, v3
	v_add_co_u32 v0, vcc_lo, v31, v0
	v_lshlrev_b64_e32 v[11:12], 2, v[11:12]
	s_wait_alu 0xfffd
	v_add_co_ci_u32_e32 v1, vcc_lo, v32, v1, vcc_lo
	v_add_co_u32 v7, vcc_lo, v31, v7
	v_lshlrev_b64_e32 v[15:16], 2, v[15:16]
	v_add_nc_u32_e32 v2, 0x200, v29
	s_wait_alu 0xfffd
	v_add_co_ci_u32_e32 v8, vcc_lo, v32, v8, vcc_lo
	v_add_co_u32 v11, vcc_lo, v31, v11
	v_lshlrev_b64_e32 v[19:20], 2, v[19:20]
	v_mov_b32_e32 v24, v4
	ds_load_2addr_b32 v[9:10], v29 offset0:78 offset1:117
	s_wait_alu 0xfffd
	v_add_co_ci_u32_e32 v12, vcc_lo, v32, v12, vcc_lo
	v_add_co_u32 v15, vcc_lo, v31, v15
	ds_load_2addr_b32 v[25:26], v2 offset0:106 offset1:145
	v_lshlrev_b64_e32 v[21:22], 2, v[21:22]
	v_add_nc_u32_e32 v2, 0x400, v29
	ds_load_2addr_b32 v[17:18], v29 offset0:156 offset1:195
	v_dual_mov_b32 v28, v4 :: v_dual_add_nc_u32 v3, 0x15f, v3
	s_wait_alu 0xfffd
	v_add_co_ci_u32_e32 v16, vcc_lo, v32, v16, vcc_lo
	v_add_co_u32 v19, vcc_lo, v31, v19
	v_lshlrev_b64_e32 v[23:24], 2, v[23:24]
	s_wait_alu 0xfffd
	v_add_co_ci_u32_e32 v20, vcc_lo, v32, v20, vcc_lo
	ds_load_2addr_b32 v[29:30], v2 offset0:56 offset1:95
	v_add_co_u32 v21, vcc_lo, v31, v21
	v_lshlrev_b64_e32 v[27:28], 2, v[27:28]
	s_wait_alu 0xfffd
	v_add_co_ci_u32_e32 v22, vcc_lo, v32, v22, vcc_lo
	v_add_co_u32 v23, vcc_lo, v31, v23
	v_lshlrev_b64_e32 v[2:3], 2, v[3:4]
	s_wait_alu 0xfffd
	v_add_co_ci_u32_e32 v24, vcc_lo, v32, v24, vcc_lo
	v_add_co_u32 v27, vcc_lo, v31, v27
	s_wait_alu 0xfffd
	v_add_co_ci_u32_e32 v28, vcc_lo, v32, v28, vcc_lo
	v_add_co_u32 v2, vcc_lo, v31, v2
	s_wait_alu 0xfffd
	v_add_co_ci_u32_e32 v3, vcc_lo, v32, v3, vcc_lo
	s_wait_dscnt 0x4
	s_clause 0x1
	global_store_b32 v[5:6], v13, off
	global_store_b32 v[0:1], v14, off
	s_wait_dscnt 0x3
	s_clause 0x1
	global_store_b32 v[7:8], v9, off
	global_store_b32 v[11:12], v10, off
	;; [unrolled: 4-line block ×3, first 2 shown]
	global_store_b32 v[21:22], v25, off
	global_store_b32 v[23:24], v26, off
	s_wait_dscnt 0x0
	s_clause 0x1
	global_store_b32 v[27:28], v29, off
	global_store_b32 v[2:3], v30, off
.LBB0_26:
	s_nop 0
	s_sendmsg sendmsg(MSG_DEALLOC_VGPRS)
	s_endpgm
	.section	.rodata,"a",@progbits
	.p2align	6, 0x0
	.amdhsa_kernel fft_rtc_fwd_len390_factors_13_3_10_wgs_117_tpt_39_half_op_CI_CI_unitstride_sbrr_C2R_dirReg
		.amdhsa_group_segment_fixed_size 0
		.amdhsa_private_segment_fixed_size 0
		.amdhsa_kernarg_size 104
		.amdhsa_user_sgpr_count 2
		.amdhsa_user_sgpr_dispatch_ptr 0
		.amdhsa_user_sgpr_queue_ptr 0
		.amdhsa_user_sgpr_kernarg_segment_ptr 1
		.amdhsa_user_sgpr_dispatch_id 0
		.amdhsa_user_sgpr_private_segment_size 0
		.amdhsa_wavefront_size32 1
		.amdhsa_uses_dynamic_stack 0
		.amdhsa_enable_private_segment 0
		.amdhsa_system_sgpr_workgroup_id_x 1
		.amdhsa_system_sgpr_workgroup_id_y 0
		.amdhsa_system_sgpr_workgroup_id_z 0
		.amdhsa_system_sgpr_workgroup_info 0
		.amdhsa_system_vgpr_workitem_id 0
		.amdhsa_next_free_vgpr 116
		.amdhsa_next_free_sgpr 39
		.amdhsa_reserve_vcc 1
		.amdhsa_float_round_mode_32 0
		.amdhsa_float_round_mode_16_64 0
		.amdhsa_float_denorm_mode_32 3
		.amdhsa_float_denorm_mode_16_64 3
		.amdhsa_fp16_overflow 0
		.amdhsa_workgroup_processor_mode 1
		.amdhsa_memory_ordered 1
		.amdhsa_forward_progress 0
		.amdhsa_round_robin_scheduling 0
		.amdhsa_exception_fp_ieee_invalid_op 0
		.amdhsa_exception_fp_denorm_src 0
		.amdhsa_exception_fp_ieee_div_zero 0
		.amdhsa_exception_fp_ieee_overflow 0
		.amdhsa_exception_fp_ieee_underflow 0
		.amdhsa_exception_fp_ieee_inexact 0
		.amdhsa_exception_int_div_zero 0
	.end_amdhsa_kernel
	.text
.Lfunc_end0:
	.size	fft_rtc_fwd_len390_factors_13_3_10_wgs_117_tpt_39_half_op_CI_CI_unitstride_sbrr_C2R_dirReg, .Lfunc_end0-fft_rtc_fwd_len390_factors_13_3_10_wgs_117_tpt_39_half_op_CI_CI_unitstride_sbrr_C2R_dirReg
                                        ; -- End function
	.section	.AMDGPU.csdata,"",@progbits
; Kernel info:
; codeLenInByte = 9508
; NumSgprs: 41
; NumVgprs: 116
; ScratchSize: 0
; MemoryBound: 0
; FloatMode: 240
; IeeeMode: 1
; LDSByteSize: 0 bytes/workgroup (compile time only)
; SGPRBlocks: 5
; VGPRBlocks: 14
; NumSGPRsForWavesPerEU: 41
; NumVGPRsForWavesPerEU: 116
; Occupancy: 12
; WaveLimiterHint : 1
; COMPUTE_PGM_RSRC2:SCRATCH_EN: 0
; COMPUTE_PGM_RSRC2:USER_SGPR: 2
; COMPUTE_PGM_RSRC2:TRAP_HANDLER: 0
; COMPUTE_PGM_RSRC2:TGID_X_EN: 1
; COMPUTE_PGM_RSRC2:TGID_Y_EN: 0
; COMPUTE_PGM_RSRC2:TGID_Z_EN: 0
; COMPUTE_PGM_RSRC2:TIDIG_COMP_CNT: 0
	.text
	.p2alignl 7, 3214868480
	.fill 96, 4, 3214868480
	.type	__hip_cuid_f4e038980915f4f3,@object ; @__hip_cuid_f4e038980915f4f3
	.section	.bss,"aw",@nobits
	.globl	__hip_cuid_f4e038980915f4f3
__hip_cuid_f4e038980915f4f3:
	.byte	0                               ; 0x0
	.size	__hip_cuid_f4e038980915f4f3, 1

	.ident	"AMD clang version 19.0.0git (https://github.com/RadeonOpenCompute/llvm-project roc-6.4.0 25133 c7fe45cf4b819c5991fe208aaa96edf142730f1d)"
	.section	".note.GNU-stack","",@progbits
	.addrsig
	.addrsig_sym __hip_cuid_f4e038980915f4f3
	.amdgpu_metadata
---
amdhsa.kernels:
  - .args:
      - .actual_access:  read_only
        .address_space:  global
        .offset:         0
        .size:           8
        .value_kind:     global_buffer
      - .offset:         8
        .size:           8
        .value_kind:     by_value
      - .actual_access:  read_only
        .address_space:  global
        .offset:         16
        .size:           8
        .value_kind:     global_buffer
      - .actual_access:  read_only
        .address_space:  global
        .offset:         24
        .size:           8
        .value_kind:     global_buffer
      - .actual_access:  read_only
        .address_space:  global
        .offset:         32
        .size:           8
        .value_kind:     global_buffer
      - .offset:         40
        .size:           8
        .value_kind:     by_value
      - .actual_access:  read_only
        .address_space:  global
        .offset:         48
        .size:           8
        .value_kind:     global_buffer
      - .actual_access:  read_only
        .address_space:  global
        .offset:         56
        .size:           8
        .value_kind:     global_buffer
      - .offset:         64
        .size:           4
        .value_kind:     by_value
      - .actual_access:  read_only
        .address_space:  global
        .offset:         72
        .size:           8
        .value_kind:     global_buffer
      - .actual_access:  read_only
        .address_space:  global
        .offset:         80
        .size:           8
        .value_kind:     global_buffer
      - .actual_access:  read_only
        .address_space:  global
        .offset:         88
        .size:           8
        .value_kind:     global_buffer
      - .actual_access:  write_only
        .address_space:  global
        .offset:         96
        .size:           8
        .value_kind:     global_buffer
    .group_segment_fixed_size: 0
    .kernarg_segment_align: 8
    .kernarg_segment_size: 104
    .language:       OpenCL C
    .language_version:
      - 2
      - 0
    .max_flat_workgroup_size: 117
    .name:           fft_rtc_fwd_len390_factors_13_3_10_wgs_117_tpt_39_half_op_CI_CI_unitstride_sbrr_C2R_dirReg
    .private_segment_fixed_size: 0
    .sgpr_count:     41
    .sgpr_spill_count: 0
    .symbol:         fft_rtc_fwd_len390_factors_13_3_10_wgs_117_tpt_39_half_op_CI_CI_unitstride_sbrr_C2R_dirReg.kd
    .uniform_work_group_size: 1
    .uses_dynamic_stack: false
    .vgpr_count:     116
    .vgpr_spill_count: 0
    .wavefront_size: 32
    .workgroup_processor_mode: 1
amdhsa.target:   amdgcn-amd-amdhsa--gfx1201
amdhsa.version:
  - 1
  - 2
...

	.end_amdgpu_metadata
